;; amdgpu-corpus repo=zjin-lcf/HeCBench kind=compiled arch=gfx1100 opt=O3
	.text
	.amdgcn_target "amdgcn-amd-amdhsa--gfx1100"
	.amdhsa_code_object_version 6
	.protected	_Z35SigmoidCrossEntropyWithLogitsKernelibbPKfS0_Pf ; -- Begin function _Z35SigmoidCrossEntropyWithLogitsKernelibbPKfS0_Pf
	.globl	_Z35SigmoidCrossEntropyWithLogitsKernelibbPKfS0_Pf
	.p2align	8
	.type	_Z35SigmoidCrossEntropyWithLogitsKernelibbPKfS0_Pf,@function
_Z35SigmoidCrossEntropyWithLogitsKernelibbPKfS0_Pf: ; @_Z35SigmoidCrossEntropyWithLogitsKernelibbPKfS0_Pf
; %bb.0:
	s_clause 0x2
	s_load_b64 s[10:11], s[0:1], 0x0
	s_load_b128 s[4:7], s[0:1], 0x8
	s_load_b64 s[2:3], s[0:1], 0x18
	s_mov_b32 s8, s15
	v_mov_b32_e32 v3, 0
	s_add_i32 s12, s15, 1
	s_mov_b32 s9, exec_lo
	s_waitcnt lgkmcnt(0)
	v_mad_u64_u32 v[1:2], null, s8, s10, v[0:1]
	s_mul_i32 s12, s12, s10
	s_delay_alu instid0(VALU_DEP_1) | instid1(SALU_CYCLE_1)
	v_cmpx_gt_i32_e64 s12, v1
	s_cbranch_execz .LBB0_12
; %bb.1:
	s_clause 0x1
	s_load_b32 s13, s[0:1], 0x4
	s_load_b32 s0, s[0:1], 0x2c
	s_bitcmp1_b32 s11, 0
	v_mov_b32_e32 v3, 0
	s_cselect_b32 s1, -1, 0
	s_delay_alu instid0(SALU_CYCLE_1)
	s_xor_b32 s1, s1, -1
	s_waitcnt lgkmcnt(0)
	s_bitcmp1_b32 s13, 8
	s_cselect_b32 s13, -1, 0
	s_and_b32 s11, s0, 0xffff
	s_xor_b32 s14, s13, -1
	s_mov_b32 s13, 0
	s_branch .LBB0_3
.LBB0_2:                                ;   in Loop: Header=BB0_3 Depth=1
	v_add_nc_u32_e32 v1, s11, v1
	s_delay_alu instid0(VALU_DEP_2) | instskip(NEXT) | instid1(VALU_DEP_2)
	v_add_f32_e32 v3, v3, v5
	v_cmp_le_i32_e32 vcc_lo, s12, v1
	s_or_b32 s13, vcc_lo, s13
	s_delay_alu instid0(SALU_CYCLE_1)
	s_and_not1_b32 exec_lo, exec_lo, s13
	s_cbranch_execz .LBB0_11
.LBB0_3:                                ; =>This Inner Loop Header: Depth=1
	s_waitcnt vmcnt(1)
	v_ashrrev_i32_e32 v2, 31, v1
	s_mov_b32 s0, -1
	s_waitcnt vmcnt(0)
	s_delay_alu instid0(VALU_DEP_1) | instskip(NEXT) | instid1(VALU_DEP_1)
	v_lshlrev_b64 v[4:5], 2, v[1:2]
	v_add_co_u32 v6, vcc_lo, s4, v4
	s_delay_alu instid0(VALU_DEP_2)
	v_add_co_ci_u32_e32 v7, vcc_lo, s5, v5, vcc_lo
	v_add_co_u32 v4, vcc_lo, s6, v4
	v_add_co_ci_u32_e32 v5, vcc_lo, s7, v5, vcc_lo
	s_and_b32 vcc_lo, exec_lo, s14
	global_load_b32 v2, v[6:7], off
	global_load_b32 v4, v[4:5], off
                                        ; implicit-def: $vgpr5
	s_cbranch_vccz .LBB0_9
; %bb.4:                                ;   in Loop: Header=BB0_3 Depth=1
	s_and_b32 vcc_lo, exec_lo, s1
	s_cbranch_vccz .LBB0_6
; %bb.5:                                ;   in Loop: Header=BB0_3 Depth=1
	s_waitcnt vmcnt(1)
	v_cmp_le_f32_e32 vcc_lo, 0, v2
	v_add_f32_e32 v6, v2, v2
	v_cndmask_b32_e64 v5, 0, 1.0, vcc_lo
	s_delay_alu instid0(VALU_DEP_1) | instskip(SKIP_2) | instid1(VALU_DEP_2)
	v_fma_f32 v6, -v6, v5, v2
	s_waitcnt vmcnt(0)
	v_sub_f32_e32 v5, v4, v5
	v_mul_f32_e32 v7, 0x3fb8aa3b, v6
	v_cmp_ngt_f32_e32 vcc_lo, 0xc2ce8ed0, v6
	s_delay_alu instid0(VALU_DEP_2) | instskip(SKIP_1) | instid1(VALU_DEP_1)
	v_fma_f32 v8, 0x3fb8aa3b, v6, -v7
	v_rndne_f32_e32 v9, v7
	v_dual_fmac_f32 v8, 0x32a5705f, v6 :: v_dual_sub_f32 v7, v7, v9
	s_delay_alu instid0(VALU_DEP_1) | instskip(SKIP_1) | instid1(VALU_DEP_2)
	v_add_f32_e32 v7, v7, v8
	v_cvt_i32_f32_e32 v8, v9
	v_exp_f32_e32 v7, v7
	s_waitcnt_depctr 0xfff
	v_ldexp_f32 v7, v7, v8
	s_delay_alu instid0(VALU_DEP_1) | instskip(SKIP_1) | instid1(VALU_DEP_2)
	v_cndmask_b32_e32 v7, 0, v7, vcc_lo
	v_cmp_nlt_f32_e32 vcc_lo, 0x42b17218, v6
	v_cndmask_b32_e32 v6, 0x7f800000, v7, vcc_lo
	s_delay_alu instid0(VALU_DEP_1) | instskip(NEXT) | instid1(VALU_DEP_1)
	v_add_f32_e32 v6, 1.0, v6
	v_cmp_gt_f32_e32 vcc_lo, 0x800000, v6
	v_cndmask_b32_e64 v7, 1.0, 0x4f800000, vcc_lo
	s_delay_alu instid0(VALU_DEP_1) | instskip(NEXT) | instid1(VALU_DEP_1)
	v_mul_f32_e32 v6, v6, v7
	v_log_f32_e32 v6, v6
	s_waitcnt_depctr 0xfff
	v_mul_f32_e32 v7, 0x3f317217, v6
	v_cmp_gt_f32_e64 s0, 0x7f800000, |v6|
	s_delay_alu instid0(VALU_DEP_2) | instskip(NEXT) | instid1(VALU_DEP_1)
	v_fma_f32 v8, 0x3f317217, v6, -v7
	v_fmac_f32_e32 v8, 0x3377d1cf, v6
	s_delay_alu instid0(VALU_DEP_1) | instskip(NEXT) | instid1(VALU_DEP_1)
	v_add_f32_e32 v7, v7, v8
	v_cndmask_b32_e64 v6, v6, v7, s0
	v_cndmask_b32_e64 v7, 0, 0x41b17218, vcc_lo
	s_delay_alu instid0(VALU_DEP_1) | instskip(NEXT) | instid1(VALU_DEP_1)
	v_sub_f32_e32 v6, v6, v7
	v_fma_f32 v5, v2, v5, -v6
	s_cbranch_execz .LBB0_7
	s_branch .LBB0_8
.LBB0_6:                                ;   in Loop: Header=BB0_3 Depth=1
                                        ; implicit-def: $vgpr5
	s_and_not1_b32 vcc_lo, exec_lo, s0
	s_cbranch_vccnz .LBB0_8
.LBB0_7:                                ;   in Loop: Header=BB0_3 Depth=1
	s_waitcnt vmcnt(1)
	v_cmp_le_f32_e32 vcc_lo, 0, v2
	v_add_f32_e32 v6, v2, v2
	v_cndmask_b32_e64 v5, 0, 1.0, vcc_lo
	s_delay_alu instid0(VALU_DEP_1) | instskip(NEXT) | instid1(VALU_DEP_1)
	v_fma_f32 v6, -v6, v5, v2
	v_mul_f32_e32 v7, 0x3fb8aa3b, v6
	v_cmp_ngt_f32_e32 vcc_lo, 0xc2ce8ed0, v6
	s_delay_alu instid0(VALU_DEP_2) | instskip(SKIP_1) | instid1(VALU_DEP_1)
	v_fma_f32 v8, 0x3fb8aa3b, v6, -v7
	v_rndne_f32_e32 v9, v7
	v_dual_fmac_f32 v8, 0x32a5705f, v6 :: v_dual_sub_f32 v7, v7, v9
	s_delay_alu instid0(VALU_DEP_1) | instskip(SKIP_1) | instid1(VALU_DEP_2)
	v_add_f32_e32 v7, v7, v8
	v_cvt_i32_f32_e32 v8, v9
	v_exp_f32_e32 v7, v7
	s_waitcnt_depctr 0xfff
	v_ldexp_f32 v7, v7, v8
	s_delay_alu instid0(VALU_DEP_1) | instskip(SKIP_1) | instid1(VALU_DEP_2)
	v_cndmask_b32_e32 v7, 0, v7, vcc_lo
	v_cmp_nlt_f32_e32 vcc_lo, 0x42b17218, v6
	v_cndmask_b32_e32 v6, 0x7f800000, v7, vcc_lo
	s_delay_alu instid0(VALU_DEP_1) | instskip(NEXT) | instid1(VALU_DEP_1)
	v_add_f32_e32 v6, 1.0, v6
	v_cmp_gt_f32_e32 vcc_lo, 0x800000, v6
	v_cndmask_b32_e64 v7, 1.0, 0x4f800000, vcc_lo
	s_delay_alu instid0(VALU_DEP_1) | instskip(NEXT) | instid1(VALU_DEP_1)
	v_mul_f32_e32 v6, v6, v7
	v_log_f32_e32 v6, v6
	s_waitcnt_depctr 0xfff
	v_mul_f32_e32 v7, 0x3f317217, v6
	v_cmp_gt_f32_e64 s0, 0x7f800000, |v6|
	s_delay_alu instid0(VALU_DEP_2) | instskip(NEXT) | instid1(VALU_DEP_1)
	v_fma_f32 v8, 0x3f317217, v6, -v7
	v_fmac_f32_e32 v8, 0x3377d1cf, v6
	s_delay_alu instid0(VALU_DEP_1) | instskip(NEXT) | instid1(VALU_DEP_1)
	v_add_f32_e32 v7, v7, v8
	v_cndmask_b32_e64 v6, v6, v7, s0
	v_cndmask_b32_e64 v7, 0, 0x41b17218, vcc_lo
	s_delay_alu instid0(VALU_DEP_1) | instskip(NEXT) | instid1(VALU_DEP_1)
	v_sub_f32_e32 v6, v6, v7
	v_fmac_f32_e32 v6, v2, v5
	s_waitcnt vmcnt(0)
	v_fma_f32 v5, v4, 2.0, -1.0
	s_delay_alu instid0(VALU_DEP_2) | instskip(NEXT) | instid1(VALU_DEP_1)
	v_sub_f32_e32 v6, v2, v6
	v_mul_f32_e32 v5, v5, v6
.LBB0_8:                                ;   in Loop: Header=BB0_3 Depth=1
	s_mov_b32 s0, 0
.LBB0_9:                                ;   in Loop: Header=BB0_3 Depth=1
	s_delay_alu instid0(SALU_CYCLE_1)
	s_and_not1_b32 vcc_lo, exec_lo, s0
	s_cbranch_vccnz .LBB0_2
; %bb.10:                               ;   in Loop: Header=BB0_3 Depth=1
	s_waitcnt vmcnt(1)
	v_cmp_le_f32_e32 vcc_lo, 0, v2
	v_add_f32_e32 v6, v2, v2
	v_cndmask_b32_e64 v5, 0, 1.0, vcc_lo
	s_delay_alu instid0(VALU_DEP_1) | instskip(NEXT) | instid1(VALU_DEP_1)
	v_fma_f32 v6, -v6, v5, v2
	v_mul_f32_e32 v7, 0x3fb8aa3b, v6
	v_cmp_ngt_f32_e32 vcc_lo, 0xc2ce8ed0, v6
	s_delay_alu instid0(VALU_DEP_2) | instskip(SKIP_1) | instid1(VALU_DEP_1)
	v_fma_f32 v8, 0x3fb8aa3b, v6, -v7
	v_rndne_f32_e32 v9, v7
	v_dual_fmac_f32 v8, 0x32a5705f, v6 :: v_dual_sub_f32 v7, v7, v9
	s_delay_alu instid0(VALU_DEP_1) | instskip(SKIP_3) | instid1(VALU_DEP_3)
	v_add_f32_e32 v7, v7, v8
	v_cvt_i32_f32_e32 v8, v9
	s_waitcnt vmcnt(0)
	v_add_f32_e32 v9, -1.0, v4
	v_exp_f32_e32 v7, v7
	s_delay_alu instid0(VALU_DEP_1) | instskip(SKIP_2) | instid1(VALU_DEP_1)
	v_mul_f32_e32 v9, v2, v9
	s_waitcnt_depctr 0xfff
	v_ldexp_f32 v7, v7, v8
	v_cndmask_b32_e32 v7, 0, v7, vcc_lo
	v_cmp_nlt_f32_e32 vcc_lo, 0x42b17218, v6
	s_delay_alu instid0(VALU_DEP_2) | instskip(NEXT) | instid1(VALU_DEP_1)
	v_cndmask_b32_e32 v6, 0x7f800000, v7, vcc_lo
	v_add_f32_e32 v6, 1.0, v6
	s_delay_alu instid0(VALU_DEP_1) | instskip(SKIP_1) | instid1(VALU_DEP_1)
	v_cmp_gt_f32_e32 vcc_lo, 0x800000, v6
	v_cndmask_b32_e64 v7, 1.0, 0x4f800000, vcc_lo
	v_mul_f32_e32 v6, v6, v7
	s_delay_alu instid0(VALU_DEP_1) | instskip(SKIP_3) | instid1(VALU_DEP_2)
	v_log_f32_e32 v6, v6
	s_waitcnt_depctr 0xfff
	v_mul_f32_e32 v7, 0x3f317217, v6
	v_cmp_gt_f32_e64 s0, 0x7f800000, |v6|
	v_fma_f32 v8, 0x3f317217, v6, -v7
	s_delay_alu instid0(VALU_DEP_1) | instskip(NEXT) | instid1(VALU_DEP_1)
	v_fmac_f32_e32 v8, 0x3377d1cf, v6
	v_add_f32_e32 v7, v7, v8
	s_delay_alu instid0(VALU_DEP_1) | instskip(SKIP_2) | instid1(VALU_DEP_1)
	v_cndmask_b32_e64 v6, v6, v7, s0
	v_cndmask_b32_e64 v7, 0, 0x41b17218, vcc_lo
	v_mul_f32_e32 v5, v9, v5
	v_fmac_f32_e32 v5, v2, v4
	v_sub_f32_e32 v2, 1.0, v4
	s_delay_alu instid0(VALU_DEP_4) | instskip(NEXT) | instid1(VALU_DEP_1)
	v_sub_f32_e32 v4, v6, v7
	v_fma_f32 v5, -v2, v4, v5
	s_branch .LBB0_2
.LBB0_11:
	s_or_b32 exec_lo, exec_lo, s13
.LBB0_12:
	s_delay_alu instid0(SALU_CYCLE_1) | instskip(SKIP_2) | instid1(VALU_DEP_1)
	s_or_b32 exec_lo, exec_lo, s9
	v_mov_b32_dpp v1, v3 quad_perm:[1,0,3,2] row_mask:0xf bank_mask:0xf
	s_mov_b32 s0, exec_lo
	v_add_f32_e32 v1, v3, v1
	s_waitcnt vmcnt(1)
	s_delay_alu instid0(VALU_DEP_1) | instskip(NEXT) | instid1(VALU_DEP_1)
	v_mov_b32_dpp v2, v1 quad_perm:[2,3,0,1] row_mask:0xf bank_mask:0xf
	v_add_f32_e32 v1, v1, v2
	s_delay_alu instid0(VALU_DEP_1) | instskip(NEXT) | instid1(VALU_DEP_1)
	v_mov_b32_dpp v2, v1 row_ror:4 row_mask:0xf bank_mask:0xf
	v_add_f32_e32 v1, v1, v2
	s_delay_alu instid0(VALU_DEP_1) | instskip(NEXT) | instid1(VALU_DEP_1)
	v_mov_b32_dpp v2, v1 row_ror:8 row_mask:0xf bank_mask:0xf
	v_add_f32_e32 v1, v1, v2
	ds_swizzle_b32 v2, v1 offset:swizzle(BROADCAST,32,15)
	s_waitcnt lgkmcnt(0)
	v_dual_add_f32 v1, v1, v2 :: v_dual_mov_b32 v2, 0
	ds_bpermute_b32 v1, v2, v1 offset:124
	v_mbcnt_lo_u32_b32 v2, -1, 0
	s_delay_alu instid0(VALU_DEP_1)
	v_cmpx_eq_u32_e32 0, v2
	s_cbranch_execz .LBB0_14
; %bb.13:
	v_lshrrev_b32_e32 v3, 3, v0
	s_delay_alu instid0(VALU_DEP_1)
	v_and_b32_e32 v3, 0x7c, v3
	s_waitcnt lgkmcnt(0)
	ds_store_b32 v3, v1
.LBB0_14:
	s_or_b32 exec_lo, exec_lo, s0
	s_delay_alu instid0(SALU_CYCLE_1)
	s_mov_b32 s0, exec_lo
	s_waitcnt vmcnt(0) lgkmcnt(0)
	s_barrier
	buffer_gl0_inv
	v_cmpx_gt_u32_e32 32, v0
	s_cbranch_execz .LBB0_16
; %bb.15:
	v_and_b32_e32 v1, 7, v2
	s_delay_alu instid0(VALU_DEP_1) | instskip(SKIP_4) | instid1(VALU_DEP_2)
	v_lshlrev_b32_e32 v3, 2, v1
	v_cmp_ne_u32_e32 vcc_lo, 7, v1
	ds_load_b32 v3, v3
	v_add_co_ci_u32_e32 v4, vcc_lo, 0, v2, vcc_lo
	v_cmp_gt_u32_e32 vcc_lo, 6, v1
	v_lshlrev_b32_e32 v4, 2, v4
	v_cndmask_b32_e64 v5, 0, 1, vcc_lo
	v_cmp_gt_u32_e32 vcc_lo, 4, v1
	s_delay_alu instid0(VALU_DEP_2) | instskip(SKIP_1) | instid1(VALU_DEP_2)
	v_lshlrev_b32_e32 v5, 1, v5
	v_cndmask_b32_e64 v1, 0, 1, vcc_lo
	v_add_lshl_u32 v5, v5, v2, 2
	s_delay_alu instid0(VALU_DEP_2)
	v_lshlrev_b32_e32 v1, 2, v1
	s_waitcnt lgkmcnt(0)
	ds_bpermute_b32 v4, v4, v3
	v_add_lshl_u32 v1, v1, v2, 2
	s_waitcnt lgkmcnt(0)
	v_add_f32_e32 v3, v3, v4
	ds_bpermute_b32 v4, v5, v3
	s_waitcnt lgkmcnt(0)
	v_add_f32_e32 v3, v3, v4
	ds_bpermute_b32 v1, v1, v3
	s_waitcnt lgkmcnt(0)
	v_add_f32_e32 v1, v3, v1
.LBB0_16:
	s_or_b32 exec_lo, exec_lo, s0
	s_delay_alu instid0(SALU_CYCLE_1)
	s_mov_b32 s0, exec_lo
	v_cmpx_eq_u32_e32 0, v0
	s_cbranch_execz .LBB0_18
; %bb.17:
	v_cvt_f32_i32_e32 v0, s10
	s_ashr_i32 s9, s8, 31
	s_delay_alu instid0(SALU_CYCLE_1) | instskip(NEXT) | instid1(SALU_CYCLE_1)
	s_lshl_b64 s[0:1], s[8:9], 2
	s_add_u32 s0, s2, s0
	s_delay_alu instid0(VALU_DEP_1) | instskip(SKIP_2) | instid1(VALU_DEP_2)
	v_div_scale_f32 v2, null, v0, v0, -v1
	v_div_scale_f32 v5, vcc_lo, -v1, v0, -v1
	s_addc_u32 s1, s3, s1
	v_rcp_f32_e32 v3, v2
	s_waitcnt_depctr 0xfff
	v_fma_f32 v4, -v2, v3, 1.0
	s_delay_alu instid0(VALU_DEP_1) | instskip(NEXT) | instid1(VALU_DEP_1)
	v_fmac_f32_e32 v3, v4, v3
	v_mul_f32_e32 v4, v5, v3
	s_delay_alu instid0(VALU_DEP_1) | instskip(NEXT) | instid1(VALU_DEP_1)
	v_fma_f32 v6, -v2, v4, v5
	v_fmac_f32_e32 v4, v6, v3
	s_delay_alu instid0(VALU_DEP_1) | instskip(NEXT) | instid1(VALU_DEP_1)
	v_fma_f32 v2, -v2, v4, v5
	v_div_fmas_f32 v2, v2, v3, v4
	s_delay_alu instid0(VALU_DEP_1)
	v_div_fixup_f32 v0, v2, v0, -v1
	v_mov_b32_e32 v1, 0
	global_store_b32 v1, v0, s[0:1]
.LBB0_18:
	s_nop 0
	s_sendmsg sendmsg(MSG_DEALLOC_VGPRS)
	s_endpgm
	.section	.rodata,"a",@progbits
	.p2align	6, 0x0
	.amdhsa_kernel _Z35SigmoidCrossEntropyWithLogitsKernelibbPKfS0_Pf
		.amdhsa_group_segment_fixed_size 32
		.amdhsa_private_segment_fixed_size 0
		.amdhsa_kernarg_size 288
		.amdhsa_user_sgpr_count 15
		.amdhsa_user_sgpr_dispatch_ptr 0
		.amdhsa_user_sgpr_queue_ptr 0
		.amdhsa_user_sgpr_kernarg_segment_ptr 1
		.amdhsa_user_sgpr_dispatch_id 0
		.amdhsa_user_sgpr_private_segment_size 0
		.amdhsa_wavefront_size32 1
		.amdhsa_uses_dynamic_stack 0
		.amdhsa_enable_private_segment 0
		.amdhsa_system_sgpr_workgroup_id_x 1
		.amdhsa_system_sgpr_workgroup_id_y 0
		.amdhsa_system_sgpr_workgroup_id_z 0
		.amdhsa_system_sgpr_workgroup_info 0
		.amdhsa_system_vgpr_workitem_id 0
		.amdhsa_next_free_vgpr 10
		.amdhsa_next_free_sgpr 16
		.amdhsa_reserve_vcc 1
		.amdhsa_float_round_mode_32 0
		.amdhsa_float_round_mode_16_64 0
		.amdhsa_float_denorm_mode_32 3
		.amdhsa_float_denorm_mode_16_64 3
		.amdhsa_dx10_clamp 1
		.amdhsa_ieee_mode 1
		.amdhsa_fp16_overflow 0
		.amdhsa_workgroup_processor_mode 1
		.amdhsa_memory_ordered 1
		.amdhsa_forward_progress 0
		.amdhsa_shared_vgpr_count 0
		.amdhsa_exception_fp_ieee_invalid_op 0
		.amdhsa_exception_fp_denorm_src 0
		.amdhsa_exception_fp_ieee_div_zero 0
		.amdhsa_exception_fp_ieee_overflow 0
		.amdhsa_exception_fp_ieee_underflow 0
		.amdhsa_exception_fp_ieee_inexact 0
		.amdhsa_exception_int_div_zero 0
	.end_amdhsa_kernel
	.text
.Lfunc_end0:
	.size	_Z35SigmoidCrossEntropyWithLogitsKernelibbPKfS0_Pf, .Lfunc_end0-_Z35SigmoidCrossEntropyWithLogitsKernelibbPKfS0_Pf
                                        ; -- End function
	.section	.AMDGPU.csdata,"",@progbits
; Kernel info:
; codeLenInByte = 1648
; NumSgprs: 18
; NumVgprs: 10
; ScratchSize: 0
; MemoryBound: 0
; FloatMode: 240
; IeeeMode: 1
; LDSByteSize: 32 bytes/workgroup (compile time only)
; SGPRBlocks: 2
; VGPRBlocks: 1
; NumSGPRsForWavesPerEU: 18
; NumVGPRsForWavesPerEU: 10
; Occupancy: 16
; WaveLimiterHint : 0
; COMPUTE_PGM_RSRC2:SCRATCH_EN: 0
; COMPUTE_PGM_RSRC2:USER_SGPR: 15
; COMPUTE_PGM_RSRC2:TRAP_HANDLER: 0
; COMPUTE_PGM_RSRC2:TGID_X_EN: 1
; COMPUTE_PGM_RSRC2:TGID_Y_EN: 0
; COMPUTE_PGM_RSRC2:TGID_Z_EN: 0
; COMPUTE_PGM_RSRC2:TIDIG_COMP_CNT: 0
	.text
	.p2alignl 7, 3214868480
	.fill 96, 4, 3214868480
	.type	__hip_cuid_9e722d17ecf12596,@object ; @__hip_cuid_9e722d17ecf12596
	.section	.bss,"aw",@nobits
	.globl	__hip_cuid_9e722d17ecf12596
__hip_cuid_9e722d17ecf12596:
	.byte	0                               ; 0x0
	.size	__hip_cuid_9e722d17ecf12596, 1

	.ident	"AMD clang version 19.0.0git (https://github.com/RadeonOpenCompute/llvm-project roc-6.4.0 25133 c7fe45cf4b819c5991fe208aaa96edf142730f1d)"
	.section	".note.GNU-stack","",@progbits
	.addrsig
	.addrsig_sym __hip_cuid_9e722d17ecf12596
	.amdgpu_metadata
---
amdhsa.kernels:
  - .args:
      - .offset:         0
        .size:           4
        .value_kind:     by_value
      - .offset:         4
        .size:           1
        .value_kind:     by_value
      - .offset:         5
        .size:           1
        .value_kind:     by_value
      - .address_space:  global
        .offset:         8
        .size:           8
        .value_kind:     global_buffer
      - .address_space:  global
        .offset:         16
        .size:           8
        .value_kind:     global_buffer
      - .address_space:  global
        .offset:         24
        .size:           8
        .value_kind:     global_buffer
      - .offset:         32
        .size:           4
        .value_kind:     hidden_block_count_x
      - .offset:         36
        .size:           4
        .value_kind:     hidden_block_count_y
      - .offset:         40
        .size:           4
        .value_kind:     hidden_block_count_z
      - .offset:         44
        .size:           2
        .value_kind:     hidden_group_size_x
      - .offset:         46
        .size:           2
        .value_kind:     hidden_group_size_y
      - .offset:         48
        .size:           2
        .value_kind:     hidden_group_size_z
      - .offset:         50
        .size:           2
        .value_kind:     hidden_remainder_x
      - .offset:         52
        .size:           2
        .value_kind:     hidden_remainder_y
      - .offset:         54
        .size:           2
        .value_kind:     hidden_remainder_z
      - .offset:         72
        .size:           8
        .value_kind:     hidden_global_offset_x
      - .offset:         80
        .size:           8
        .value_kind:     hidden_global_offset_y
      - .offset:         88
        .size:           8
        .value_kind:     hidden_global_offset_z
      - .offset:         96
        .size:           2
        .value_kind:     hidden_grid_dims
    .group_segment_fixed_size: 32
    .kernarg_segment_align: 8
    .kernarg_segment_size: 288
    .language:       OpenCL C
    .language_version:
      - 2
      - 0
    .max_flat_workgroup_size: 1024
    .name:           _Z35SigmoidCrossEntropyWithLogitsKernelibbPKfS0_Pf
    .private_segment_fixed_size: 0
    .sgpr_count:     18
    .sgpr_spill_count: 0
    .symbol:         _Z35SigmoidCrossEntropyWithLogitsKernelibbPKfS0_Pf.kd
    .uniform_work_group_size: 1
    .uses_dynamic_stack: false
    .vgpr_count:     10
    .vgpr_spill_count: 0
    .wavefront_size: 32
    .workgroup_processor_mode: 1
amdhsa.target:   amdgcn-amd-amdhsa--gfx1100
amdhsa.version:
  - 1
  - 2
...

	.end_amdgpu_metadata
